;; amdgpu-corpus repo=zjin-lcf/HeCBench kind=compiled arch=gfx906 opt=O3
	.amdgcn_target "amdgcn-amd-amdhsa--gfx906"
	.amdhsa_code_object_version 6
	.text
	.protected	_Z24groupnorm_forward_kernelPKfS0_S0_PfS1_S1_iiiii ; -- Begin function _Z24groupnorm_forward_kernelPKfS0_S0_PfS1_S1_iiiii
	.globl	_Z24groupnorm_forward_kernelPKfS0_S0_PfS1_S1_iiiii
	.p2align	8
	.type	_Z24groupnorm_forward_kernelPKfS0_S0_PfS1_S1_iiiii,@function
_Z24groupnorm_forward_kernelPKfS0_S0_PfS1_S1_iiiii: ; @_Z24groupnorm_forward_kernelPKfS0_S0_PfS1_S1_iiiii
; %bb.0:
	s_load_dwordx4 s[16:19], s[4:5], 0x38
	s_load_dwordx4 s[20:23], s[4:5], 0x20
	s_load_dword s0, s[4:5], 0x54
	s_mov_b32 s7, 0
	s_load_dwordx8 s[8:15], s[4:5], 0x0
	s_waitcnt lgkmcnt(0)
	v_cvt_f32_u32_e32 v1, s18
	s_mul_i32 s24, s17, s16
	s_mov_b32 s1, s7
	s_and_b32 s19, s0, 0xffff
	v_rcp_iflag_f32_e32 v1, v1
	s_mul_i32 s0, s24, s6
	s_sub_i32 s2, 0, s18
	s_lshl_b64 s[4:5], s[0:1], 2
	v_mul_f32_e32 v1, 0x4f7ffffe, v1
	v_cvt_u32_f32_e32 v1, v1
	v_mov_b32_e32 v3, 0
	v_mov_b32_e32 v5, 0
	v_readfirstlane_b32 s0, v1
	s_mul_i32 s2, s2, s0
	s_mul_hi_u32 s1, s0, s2
	s_add_i32 s0, s0, s1
	s_add_u32 s25, s8, s4
	s_mul_hi_u32 s27, s6, s0
	s_addc_u32 s26, s9, s5
	v_cmp_gt_i32_e64 s[0:1], s24, v0
	s_and_saveexec_b64 s[2:3], s[0:1]
	s_cbranch_execz .LBB0_4
; %bb.1:
	v_mov_b32_e32 v3, 0
	s_mov_b64 s[8:9], 0
	v_mov_b32_e32 v4, s26
	v_mov_b32_e32 v5, 0
	;; [unrolled: 1-line block ×3, first 2 shown]
.LBB0_2:                                ; =>This Inner Loop Header: Depth=1
	v_ashrrev_i32_e32 v2, 31, v1
	v_lshlrev_b64 v[6:7], 2, v[1:2]
	v_add_u32_e32 v1, s19, v1
	v_add_co_u32_e32 v6, vcc, s25, v6
	v_addc_co_u32_e32 v7, vcc, v4, v7, vcc
	global_load_dword v2, v[6:7], off
	v_cmp_le_i32_e32 vcc, s24, v1
	s_or_b64 s[8:9], vcc, s[8:9]
	s_waitcnt vmcnt(0)
	v_add_f32_e32 v3, v3, v2
	v_fmac_f32_e32 v5, v2, v2
	s_andn2_b64 exec, exec, s[8:9]
	s_cbranch_execnz .LBB0_2
; %bb.3:
	s_or_b64 exec, exec, s[8:9]
.LBB0_4:
	s_or_b64 exec, exec, s[2:3]
	v_mbcnt_lo_u32_b32 v1, -1, 0
	v_mbcnt_hi_u32_b32 v6, -1, v1
	v_and_b32_e32 v1, 64, v6
	v_add_u32_e32 v7, 64, v1
	v_xor_b32_e32 v1, 32, v6
	v_cmp_lt_i32_e32 vcc, v1, v7
	v_cndmask_b32_e32 v1, v6, v1, vcc
	v_lshlrev_b32_e32 v1, 2, v1
	ds_bpermute_b32 v2, v1, v3
	v_xor_b32_e32 v4, 16, v6
	v_cmp_lt_i32_e32 vcc, v4, v7
	ds_bpermute_b32 v10, v1, v5
	v_xor_b32_e32 v8, 8, v6
	s_waitcnt lgkmcnt(1)
	v_add_f32_e32 v3, v3, v2
	v_cndmask_b32_e32 v2, v6, v4, vcc
	v_lshlrev_b32_e32 v2, 2, v2
	ds_bpermute_b32 v4, v2, v3
	v_cmp_lt_i32_e32 vcc, v8, v7
	s_waitcnt lgkmcnt(1)
	v_add_f32_e32 v5, v5, v10
	ds_bpermute_b32 v10, v2, v5
	v_xor_b32_e32 v9, 4, v6
	s_waitcnt lgkmcnt(1)
	v_add_f32_e32 v4, v3, v4
	v_cndmask_b32_e32 v3, v6, v8, vcc
	v_lshlrev_b32_e32 v3, 2, v3
	ds_bpermute_b32 v8, v3, v4
	v_cmp_lt_i32_e32 vcc, v9, v7
	s_waitcnt lgkmcnt(1)
	v_add_f32_e32 v10, v5, v10
	ds_bpermute_b32 v11, v3, v10
	s_lshr_b32 s2, s19, 6
	s_waitcnt lgkmcnt(1)
	v_add_f32_e32 v8, v4, v8
	v_cndmask_b32_e32 v4, v6, v9, vcc
	v_lshlrev_b32_e32 v4, 2, v4
	ds_bpermute_b32 v9, v4, v8
	s_waitcnt lgkmcnt(1)
	v_add_f32_e32 v10, v10, v11
	ds_bpermute_b32 v11, v4, v10
	s_waitcnt lgkmcnt(1)
	v_add_f32_e32 v8, v8, v9
	v_xor_b32_e32 v9, 2, v6
	v_cmp_lt_i32_e32 vcc, v9, v7
	v_cndmask_b32_e32 v5, v6, v9, vcc
	v_lshlrev_b32_e32 v5, 2, v5
	ds_bpermute_b32 v9, v5, v8
	s_waitcnt lgkmcnt(1)
	v_add_f32_e32 v10, v10, v11
	ds_bpermute_b32 v11, v5, v10
	s_waitcnt lgkmcnt(1)
	v_add_f32_e32 v8, v8, v9
	v_xor_b32_e32 v9, 1, v6
	v_cmp_lt_i32_e32 vcc, v9, v7
	v_cndmask_b32_e32 v6, v6, v9, vcc
	v_lshlrev_b32_e32 v6, 2, v6
	s_waitcnt lgkmcnt(0)
	v_add_f32_e32 v9, v10, v11
	ds_bpermute_b32 v7, v6, v8
	ds_bpermute_b32 v10, v6, v9
	v_and_b32_e32 v11, 63, v0
	v_cmp_gt_u32_e32 vcc, s2, v11
	s_waitcnt lgkmcnt(1)
	v_add_f32_e32 v7, v8, v7
	s_waitcnt lgkmcnt(0)
	v_add_f32_e32 v8, v9, v10
	v_lshrrev_b32_e32 v9, 4, v0
	v_and_b32_e32 v9, 60, v9
	ds_write2_b32 v9, v7, v8 offset1:16
	v_mov_b32_e32 v8, 0
	v_lshlrev_b32_e32 v9, 2, v11
	v_mov_b32_e32 v7, 0
	s_waitcnt lgkmcnt(0)
	s_barrier
	s_and_saveexec_b64 s[2:3], vcc
; %bb.5:
	ds_read_b32 v7, v9
; %bb.6:
	s_or_b64 exec, exec, s[2:3]
	s_and_saveexec_b64 s[2:3], vcc
; %bb.7:
	ds_read_b32 v8, v9 offset:64
; %bb.8:
	s_or_b64 exec, exec, s[2:3]
	s_waitcnt lgkmcnt(0)
	ds_bpermute_b32 v9, v1, v7
	ds_bpermute_b32 v1, v1, v8
	s_cmp_lg_u64 s[20:21], 0
	s_cselect_b64 s[8:9], -1, 0
	s_waitcnt lgkmcnt(1)
	v_add_f32_e32 v7, v7, v9
	ds_bpermute_b32 v9, v2, v7
	s_waitcnt lgkmcnt(1)
	v_add_f32_e32 v1, v8, v1
	ds_bpermute_b32 v2, v2, v1
	;; [unrolled: 3-line block ×5, first 2 shown]
	s_waitcnt lgkmcnt(1)
	v_add_f32_e32 v1, v1, v2
	s_waitcnt lgkmcnt(0)
	v_add_f32_e32 v7, v7, v9
	ds_bpermute_b32 v9, v5, v7
	s_waitcnt lgkmcnt(0)
	v_add_f32_e32 v9, v7, v9
	ds_bpermute_b32 v10, v6, v9
	v_cvt_f32_i32_e32 v7, s24
	s_waitcnt lgkmcnt(0)
	v_add_f32_e32 v9, v9, v10
	v_div_scale_f32 v10, s[2:3], v7, v7, v9
	v_div_scale_f32 v11, vcc, v9, v7, v9
	v_cmp_eq_u32_e64 s[2:3], 0, v0
	s_and_b64 s[28:29], s[2:3], s[8:9]
	v_rcp_f32_e32 v3, v10
	v_fma_f32 v2, -v10, v3, 1.0
	v_fmac_f32_e32 v3, v2, v3
	v_mul_f32_e32 v2, v11, v3
	v_fma_f32 v8, -v10, v2, v11
	v_fmac_f32_e32 v2, v8, v3
	v_fma_f32 v8, -v10, v2, v11
	v_div_fmas_f32 v2, v8, v3, v2
	ds_bpermute_b32 v3, v4, v1
	s_waitcnt lgkmcnt(0)
	v_add_f32_e32 v1, v1, v3
	ds_bpermute_b32 v3, v5, v1
	s_waitcnt lgkmcnt(0)
	v_add_f32_e32 v1, v1, v3
	ds_bpermute_b32 v3, v6, v1
	v_div_fixup_f32 v2, v2, v7, v9
	s_and_saveexec_b64 s[8:9], s[28:29]
	s_cbranch_execz .LBB0_10
; %bb.9:
	s_lshl_b64 s[28:29], s[6:7], 2
	s_add_u32 s20, s20, s28
	s_addc_u32 s21, s21, s29
	v_mov_b32_e32 v4, 0
	global_store_dword v4, v2, s[20:21]
.LBB0_10:
	s_or_b64 exec, exec, s[8:9]
	s_waitcnt lgkmcnt(0)
	v_add_f32_e32 v1, v1, v3
	v_div_scale_f32 v3, s[8:9], v7, v7, v1
	v_div_scale_f32 v4, vcc, v1, v7, v1
	s_mov_b32 s8, 0x800000
	s_cmp_lg_u64 s[22:23], 0
	v_rcp_f32_e32 v5, v3
	v_fma_f32 v6, -v3, v5, 1.0
	v_fmac_f32_e32 v5, v6, v5
	v_mul_f32_e32 v6, v4, v5
	v_fma_f32 v8, -v3, v6, v4
	v_fmac_f32_e32 v6, v8, v5
	v_fma_f32 v3, -v3, v6, v4
	v_div_fmas_f32 v3, v3, v5, v6
	v_div_fixup_f32 v1, v3, v7, v1
	v_fma_f32 v1, -v2, v2, v1
	v_add_f32_e32 v1, 0x3727c5ac, v1
	v_mul_f32_e32 v3, 0x4b800000, v1
	v_cmp_gt_f32_e32 vcc, s8, v1
	v_cndmask_b32_e32 v1, v1, v3, vcc
	v_rsq_f32_e32 v1, v1
	s_cselect_b64 s[8:9], -1, 0
	s_and_b64 s[8:9], s[2:3], s[8:9]
	v_mul_f32_e32 v3, 0x45800000, v1
	v_cndmask_b32_e32 v3, v1, v3, vcc
	s_and_saveexec_b64 s[2:3], s[8:9]
	s_cbranch_execz .LBB0_12
; %bb.11:
	s_lshl_b64 s[8:9], s[6:7], 2
	s_add_u32 s8, s22, s8
	s_addc_u32 s9, s23, s9
	v_mov_b32_e32 v1, 0
	global_store_dword v1, v3, s[8:9]
.LBB0_12:
	s_or_b64 exec, exec, s[2:3]
	s_and_saveexec_b64 s[2:3], s[0:1]
	s_cbranch_execz .LBB0_15
; %bb.13:
	s_mul_i32 s27, s27, s18
	s_sub_i32 s0, s6, s27
	s_sub_i32 s1, s0, s18
	s_cmp_ge_u32 s0, s18
	s_cselect_b32 s0, s1, s0
	s_sub_i32 s1, s0, s18
	s_cmp_ge_u32 s0, s18
	s_cselect_b32 s0, s1, s0
	s_add_u32 s4, s14, s4
	s_mul_i32 s0, s0, s17
	s_addc_u32 s9, s15, s5
	s_ashr_i32 s1, s0, 31
	s_lshl_b64 s[0:1], s[0:1], 2
	s_add_u32 s5, s10, s0
	s_addc_u32 s8, s11, s1
	s_add_u32 s6, s12, s0
	s_addc_u32 s0, s13, s1
	s_abs_i32 s7, s16
	v_cvt_f32_u32_e32 v1, s7
	s_sub_i32 s1, 0, s7
	s_mov_b64 s[2:3], 0
	v_mov_b32_e32 v4, s26
	v_rcp_iflag_f32_e32 v1, v1
	v_mov_b32_e32 v6, s0
	v_mov_b32_e32 v8, s9
	v_mul_f32_e32 v1, 0x4f7ffffe, v1
	v_cvt_u32_f32_e32 v1, v1
	v_mul_lo_u32 v5, s1, v1
	v_mul_hi_u32 v7, v1, v5
	v_mov_b32_e32 v5, s8
	s_ashr_i32 s8, s16, 31
	v_add_u32_e32 v7, v1, v7
.LBB0_14:                               ; =>This Inner Loop Header: Depth=1
	v_sub_u32_e32 v1, 0, v0
	v_max_i32_e32 v9, v0, v1
	v_mul_hi_u32 v10, v9, v7
	v_ashrrev_i32_e32 v1, 31, v0
	v_xor_b32_e32 v12, s8, v1
	v_mul_lo_u32 v11, v10, s7
	v_add_u32_e32 v13, 1, v10
	v_sub_u32_e32 v9, v9, v11
	v_cmp_le_u32_e32 vcc, s7, v9
	v_subrev_u32_e32 v11, s7, v9
	v_cndmask_b32_e32 v10, v10, v13, vcc
	v_cndmask_b32_e32 v9, v9, v11, vcc
	v_add_u32_e32 v11, 1, v10
	v_cmp_le_u32_e32 vcc, s7, v9
	v_cndmask_b32_e32 v9, v10, v11, vcc
	v_xor_b32_e32 v9, v9, v12
	v_sub_u32_e32 v9, v9, v12
	v_lshlrev_b64 v[11:12], 2, v[0:1]
	v_ashrrev_i32_e32 v10, 31, v9
	v_add_co_u32_e32 v13, vcc, s25, v11
	v_lshlrev_b64 v[9:10], 2, v[9:10]
	v_addc_co_u32_e32 v14, vcc, v4, v12, vcc
	global_load_dword v1, v[13:14], off
	v_add_co_u32_e32 v13, vcc, s5, v9
	v_addc_co_u32_e32 v14, vcc, v5, v10, vcc
	v_add_co_u32_e32 v9, vcc, s6, v9
	v_addc_co_u32_e32 v10, vcc, v6, v10, vcc
	global_load_dword v13, v[13:14], off
	v_add_u32_e32 v0, s19, v0
	global_load_dword v14, v[9:10], off
	v_cmp_le_i32_e32 vcc, s24, v0
	v_add_co_u32_e64 v9, s[0:1], s4, v11
	v_addc_co_u32_e64 v10, s[0:1], v8, v12, s[0:1]
	s_or_b64 s[2:3], vcc, s[2:3]
	s_waitcnt vmcnt(2)
	v_sub_f32_e32 v1, v1, v2
	v_mul_f32_e32 v1, v3, v1
	s_waitcnt vmcnt(0)
	v_fmac_f32_e32 v14, v13, v1
	global_store_dword v[9:10], v14, off
	s_andn2_b64 exec, exec, s[2:3]
	s_cbranch_execnz .LBB0_14
.LBB0_15:
	s_endpgm
	.section	.rodata,"a",@progbits
	.p2align	6, 0x0
	.amdhsa_kernel _Z24groupnorm_forward_kernelPKfS0_S0_PfS1_S1_iiiii
		.amdhsa_group_segment_fixed_size 128
		.amdhsa_private_segment_fixed_size 0
		.amdhsa_kernarg_size 328
		.amdhsa_user_sgpr_count 6
		.amdhsa_user_sgpr_private_segment_buffer 1
		.amdhsa_user_sgpr_dispatch_ptr 0
		.amdhsa_user_sgpr_queue_ptr 0
		.amdhsa_user_sgpr_kernarg_segment_ptr 1
		.amdhsa_user_sgpr_dispatch_id 0
		.amdhsa_user_sgpr_flat_scratch_init 0
		.amdhsa_user_sgpr_private_segment_size 0
		.amdhsa_uses_dynamic_stack 0
		.amdhsa_system_sgpr_private_segment_wavefront_offset 0
		.amdhsa_system_sgpr_workgroup_id_x 1
		.amdhsa_system_sgpr_workgroup_id_y 0
		.amdhsa_system_sgpr_workgroup_id_z 0
		.amdhsa_system_sgpr_workgroup_info 0
		.amdhsa_system_vgpr_workitem_id 0
		.amdhsa_next_free_vgpr 15
		.amdhsa_next_free_sgpr 30
		.amdhsa_reserve_vcc 1
		.amdhsa_reserve_flat_scratch 0
		.amdhsa_float_round_mode_32 0
		.amdhsa_float_round_mode_16_64 0
		.amdhsa_float_denorm_mode_32 3
		.amdhsa_float_denorm_mode_16_64 3
		.amdhsa_dx10_clamp 1
		.amdhsa_ieee_mode 1
		.amdhsa_fp16_overflow 0
		.amdhsa_exception_fp_ieee_invalid_op 0
		.amdhsa_exception_fp_denorm_src 0
		.amdhsa_exception_fp_ieee_div_zero 0
		.amdhsa_exception_fp_ieee_overflow 0
		.amdhsa_exception_fp_ieee_underflow 0
		.amdhsa_exception_fp_ieee_inexact 0
		.amdhsa_exception_int_div_zero 0
	.end_amdhsa_kernel
	.text
.Lfunc_end0:
	.size	_Z24groupnorm_forward_kernelPKfS0_S0_PfS1_S1_iiiii, .Lfunc_end0-_Z24groupnorm_forward_kernelPKfS0_S0_PfS1_S1_iiiii
                                        ; -- End function
	.set _Z24groupnorm_forward_kernelPKfS0_S0_PfS1_S1_iiiii.num_vgpr, 15
	.set _Z24groupnorm_forward_kernelPKfS0_S0_PfS1_S1_iiiii.num_agpr, 0
	.set _Z24groupnorm_forward_kernelPKfS0_S0_PfS1_S1_iiiii.numbered_sgpr, 30
	.set _Z24groupnorm_forward_kernelPKfS0_S0_PfS1_S1_iiiii.num_named_barrier, 0
	.set _Z24groupnorm_forward_kernelPKfS0_S0_PfS1_S1_iiiii.private_seg_size, 0
	.set _Z24groupnorm_forward_kernelPKfS0_S0_PfS1_S1_iiiii.uses_vcc, 1
	.set _Z24groupnorm_forward_kernelPKfS0_S0_PfS1_S1_iiiii.uses_flat_scratch, 0
	.set _Z24groupnorm_forward_kernelPKfS0_S0_PfS1_S1_iiiii.has_dyn_sized_stack, 0
	.set _Z24groupnorm_forward_kernelPKfS0_S0_PfS1_S1_iiiii.has_recursion, 0
	.set _Z24groupnorm_forward_kernelPKfS0_S0_PfS1_S1_iiiii.has_indirect_call, 0
	.section	.AMDGPU.csdata,"",@progbits
; Kernel info:
; codeLenInByte = 1484
; TotalNumSgprs: 34
; NumVgprs: 15
; ScratchSize: 0
; MemoryBound: 0
; FloatMode: 240
; IeeeMode: 1
; LDSByteSize: 128 bytes/workgroup (compile time only)
; SGPRBlocks: 4
; VGPRBlocks: 3
; NumSGPRsForWavesPerEU: 34
; NumVGPRsForWavesPerEU: 15
; Occupancy: 10
; WaveLimiterHint : 0
; COMPUTE_PGM_RSRC2:SCRATCH_EN: 0
; COMPUTE_PGM_RSRC2:USER_SGPR: 6
; COMPUTE_PGM_RSRC2:TRAP_HANDLER: 0
; COMPUTE_PGM_RSRC2:TGID_X_EN: 1
; COMPUTE_PGM_RSRC2:TGID_Y_EN: 0
; COMPUTE_PGM_RSRC2:TGID_Z_EN: 0
; COMPUTE_PGM_RSRC2:TIDIG_COMP_CNT: 0
	.text
	.protected	_Z25groupnorm_forward_kernel2PKfS0_S0_PfS1_S1_iiiii ; -- Begin function _Z25groupnorm_forward_kernel2PKfS0_S0_PfS1_S1_iiiii
	.globl	_Z25groupnorm_forward_kernel2PKfS0_S0_PfS1_S1_iiiii
	.p2align	8
	.type	_Z25groupnorm_forward_kernel2PKfS0_S0_PfS1_S1_iiiii,@function
_Z25groupnorm_forward_kernel2PKfS0_S0_PfS1_S1_iiiii: ; @_Z25groupnorm_forward_kernel2PKfS0_S0_PfS1_S1_iiiii
; %bb.0:
	s_load_dwordx4 s[16:19], s[4:5], 0x38
	s_load_dwordx4 s[20:23], s[4:5], 0x20
	s_load_dword s0, s[4:5], 0x54
	s_load_dwordx8 s[8:15], s[4:5], 0x0
	s_mov_b32 s7, 0
	s_waitcnt lgkmcnt(0)
	v_cvt_f32_u32_e32 v1, s18
	s_mul_i32 s24, s17, s16
	s_sub_i32 s2, 0, s18
	s_ashr_i32 s3, s24, 31
	v_rcp_iflag_f32_e32 v1, v1
	s_lshr_b32 s3, s3, 30
	s_mov_b32 s1, s7
	s_and_b32 s19, s0, 0xffff
	v_mul_f32_e32 v1, 0x4f7ffffe, v1
	v_cvt_u32_f32_e32 v1, v1
	s_mul_i32 s0, s24, s6
	v_mov_b32_e32 v3, 0
	v_mov_b32_e32 v4, 0
	v_readfirstlane_b32 s4, v1
	s_mul_i32 s2, s2, s4
	s_mul_hi_u32 s2, s4, s2
	s_add_i32 s4, s4, s2
	s_add_i32 s2, s24, s3
	s_ashr_i32 s26, s2, 2
	s_mul_hi_u32 s25, s6, s4
	v_cmp_gt_i32_e32 vcc, s26, v0
	s_and_saveexec_b64 s[2:3], vcc
	s_cbranch_execz .LBB1_4
; %bb.1:
	s_lshl_b64 s[4:5], s[0:1], 2
	s_add_u32 s4, s8, s4
	v_lshlrev_b32_e32 v1, 4, v0
	s_addc_u32 s5, s9, s5
	v_mov_b32_e32 v2, s5
	v_add_co_u32_e32 v1, vcc, s4, v1
	v_addc_co_u32_e32 v2, vcc, 0, v2, vcc
	v_add_co_u32_e32 v1, vcc, 8, v1
	v_mov_b32_e32 v3, 0
	v_addc_co_u32_e32 v2, vcc, 0, v2, vcc
	s_lshl_b32 s27, s19, 4
	s_mov_b64 s[4:5], 0
	v_mov_b32_e32 v4, 0
	v_mov_b32_e32 v7, 0
	;; [unrolled: 1-line block ×8, first 2 shown]
.LBB1_2:                                ; =>This Inner Loop Header: Depth=1
	global_load_dwordx4 v[12:15], v[1:2], off offset:-8
	v_add_co_u32_e32 v1, vcc, s27, v1
	v_add_u32_e32 v11, s19, v11
	v_addc_co_u32_e32 v2, vcc, 0, v2, vcc
	v_cmp_le_i32_e32 vcc, s26, v11
	s_or_b64 s[4:5], vcc, s[4:5]
	s_waitcnt vmcnt(0)
	v_add_f32_e32 v8, v8, v12
	v_add_f32_e32 v7, v7, v13
	v_add_f32_e32 v4, v4, v14
	v_add_f32_e32 v3, v3, v15
	v_fmac_f32_e32 v10, v12, v12
	v_fmac_f32_e32 v9, v13, v13
	v_fmac_f32_e32 v6, v14, v14
	v_fmac_f32_e32 v5, v15, v15
	s_andn2_b64 exec, exec, s[4:5]
	s_cbranch_execnz .LBB1_2
; %bb.3:
	s_or_b64 exec, exec, s[4:5]
	v_add_f32_e32 v1, v8, v7
	v_add_f32_e32 v1, v1, v4
	;; [unrolled: 1-line block ×6, first 2 shown]
.LBB1_4:
	s_or_b64 exec, exec, s[2:3]
	s_lshl_b64 s[2:3], s[0:1], 2
	s_add_u32 s8, s8, s2
	v_lshl_add_u32 v1, s26, 2, v0
	s_addc_u32 s9, s9, s3
	v_cmp_gt_i32_e32 vcc, s24, v1
	s_and_saveexec_b64 s[0:1], vcc
	s_cbranch_execz .LBB1_8
; %bb.5:
	s_mov_b64 s[4:5], 0
	v_mov_b32_e32 v5, s9
.LBB1_6:                                ; =>This Inner Loop Header: Depth=1
	v_ashrrev_i32_e32 v2, 31, v1
	v_lshlrev_b64 v[6:7], 2, v[1:2]
	v_add_u32_e32 v1, s19, v1
	v_add_co_u32_e32 v6, vcc, s8, v6
	v_addc_co_u32_e32 v7, vcc, v5, v7, vcc
	global_load_dword v2, v[6:7], off
	v_cmp_le_i32_e32 vcc, s24, v1
	s_or_b64 s[4:5], vcc, s[4:5]
	s_waitcnt vmcnt(0)
	v_add_f32_e32 v4, v4, v2
	v_fmac_f32_e32 v3, v2, v2
	s_andn2_b64 exec, exec, s[4:5]
	s_cbranch_execnz .LBB1_6
; %bb.7:
	s_or_b64 exec, exec, s[4:5]
.LBB1_8:
	s_or_b64 exec, exec, s[0:1]
	v_mbcnt_lo_u32_b32 v1, -1, 0
	v_mbcnt_hi_u32_b32 v6, -1, v1
	v_and_b32_e32 v1, 64, v6
	v_add_u32_e32 v7, 64, v1
	v_xor_b32_e32 v1, 32, v6
	v_cmp_lt_i32_e32 vcc, v1, v7
	v_cndmask_b32_e32 v1, v6, v1, vcc
	v_lshlrev_b32_e32 v1, 2, v1
	ds_bpermute_b32 v2, v1, v4
	v_xor_b32_e32 v5, 16, v6
	v_cmp_lt_i32_e32 vcc, v5, v7
	ds_bpermute_b32 v10, v1, v3
	v_xor_b32_e32 v8, 8, v6
	s_waitcnt lgkmcnt(1)
	v_add_f32_e32 v4, v4, v2
	v_cndmask_b32_e32 v2, v6, v5, vcc
	v_lshlrev_b32_e32 v2, 2, v2
	ds_bpermute_b32 v5, v2, v4
	v_cmp_lt_i32_e32 vcc, v8, v7
	s_waitcnt lgkmcnt(1)
	v_add_f32_e32 v3, v3, v10
	ds_bpermute_b32 v10, v2, v3
	v_xor_b32_e32 v9, 4, v6
	s_waitcnt lgkmcnt(1)
	v_add_f32_e32 v5, v4, v5
	v_cndmask_b32_e32 v4, v6, v8, vcc
	v_lshlrev_b32_e32 v4, 2, v4
	ds_bpermute_b32 v8, v4, v5
	v_cmp_lt_i32_e32 vcc, v9, v7
	s_waitcnt lgkmcnt(1)
	v_add_f32_e32 v10, v3, v10
	ds_bpermute_b32 v11, v4, v10
	s_lshr_b32 s0, s19, 6
	s_waitcnt lgkmcnt(1)
	v_add_f32_e32 v8, v5, v8
	v_cndmask_b32_e32 v5, v6, v9, vcc
	v_lshlrev_b32_e32 v5, 2, v5
	ds_bpermute_b32 v9, v5, v8
	s_waitcnt lgkmcnt(1)
	v_add_f32_e32 v10, v10, v11
	ds_bpermute_b32 v11, v5, v10
	s_waitcnt lgkmcnt(1)
	v_add_f32_e32 v8, v8, v9
	v_xor_b32_e32 v9, 2, v6
	v_cmp_lt_i32_e32 vcc, v9, v7
	v_cndmask_b32_e32 v3, v6, v9, vcc
	v_lshlrev_b32_e32 v3, 2, v3
	ds_bpermute_b32 v9, v3, v8
	s_waitcnt lgkmcnt(1)
	v_add_f32_e32 v10, v10, v11
	ds_bpermute_b32 v11, v3, v10
	s_waitcnt lgkmcnt(1)
	v_add_f32_e32 v8, v8, v9
	v_xor_b32_e32 v9, 1, v6
	v_cmp_lt_i32_e32 vcc, v9, v7
	v_cndmask_b32_e32 v6, v6, v9, vcc
	v_lshlrev_b32_e32 v6, 2, v6
	s_waitcnt lgkmcnt(0)
	v_add_f32_e32 v9, v10, v11
	ds_bpermute_b32 v7, v6, v8
	ds_bpermute_b32 v10, v6, v9
	v_and_b32_e32 v11, 63, v0
	v_cmp_gt_u32_e32 vcc, s0, v11
	s_waitcnt lgkmcnt(1)
	v_add_f32_e32 v7, v8, v7
	s_waitcnt lgkmcnt(0)
	v_add_f32_e32 v8, v9, v10
	v_lshrrev_b32_e32 v9, 4, v0
	v_and_b32_e32 v9, 60, v9
	ds_write2_b32 v9, v7, v8 offset1:16
	v_mov_b32_e32 v8, 0
	v_lshlrev_b32_e32 v9, 2, v11
	v_mov_b32_e32 v7, 0
	s_waitcnt lgkmcnt(0)
	s_barrier
	s_and_saveexec_b64 s[0:1], vcc
; %bb.9:
	ds_read_b32 v7, v9
; %bb.10:
	s_or_b64 exec, exec, s[0:1]
	s_and_saveexec_b64 s[0:1], vcc
; %bb.11:
	ds_read_b32 v8, v9 offset:64
; %bb.12:
	s_or_b64 exec, exec, s[0:1]
	s_waitcnt lgkmcnt(0)
	ds_bpermute_b32 v9, v1, v7
	ds_bpermute_b32 v1, v1, v8
	s_cmp_lg_u64 s[20:21], 0
	s_cselect_b64 s[4:5], -1, 0
	s_waitcnt lgkmcnt(1)
	v_add_f32_e32 v7, v7, v9
	ds_bpermute_b32 v9, v2, v7
	s_waitcnt lgkmcnt(1)
	v_add_f32_e32 v1, v8, v1
	ds_bpermute_b32 v2, v2, v1
	;; [unrolled: 3-line block ×5, first 2 shown]
	s_waitcnt lgkmcnt(1)
	v_add_f32_e32 v1, v1, v2
	s_waitcnt lgkmcnt(0)
	v_add_f32_e32 v7, v7, v9
	ds_bpermute_b32 v9, v3, v7
	s_waitcnt lgkmcnt(0)
	v_add_f32_e32 v9, v7, v9
	ds_bpermute_b32 v10, v6, v9
	v_cvt_f32_i32_e32 v7, s24
	s_waitcnt lgkmcnt(0)
	v_add_f32_e32 v9, v9, v10
	v_div_scale_f32 v10, s[0:1], v7, v7, v9
	v_div_scale_f32 v11, vcc, v9, v7, v9
	v_cmp_eq_u32_e64 s[0:1], 0, v0
	s_and_b64 s[26:27], s[0:1], s[4:5]
	v_rcp_f32_e32 v4, v10
	v_fma_f32 v2, -v10, v4, 1.0
	v_fmac_f32_e32 v4, v2, v4
	v_mul_f32_e32 v2, v11, v4
	v_fma_f32 v8, -v10, v2, v11
	v_fmac_f32_e32 v2, v8, v4
	v_fma_f32 v8, -v10, v2, v11
	v_div_fmas_f32 v2, v8, v4, v2
	ds_bpermute_b32 v4, v5, v1
	s_waitcnt lgkmcnt(0)
	v_add_f32_e32 v1, v1, v4
	ds_bpermute_b32 v3, v3, v1
	s_waitcnt lgkmcnt(0)
	v_add_f32_e32 v1, v1, v3
	ds_bpermute_b32 v3, v6, v1
	v_div_fixup_f32 v2, v2, v7, v9
	s_and_saveexec_b64 s[4:5], s[26:27]
	s_cbranch_execz .LBB1_14
; %bb.13:
	s_lshl_b64 s[26:27], s[6:7], 2
	s_add_u32 s20, s20, s26
	s_addc_u32 s21, s21, s27
	v_mov_b32_e32 v4, 0
	global_store_dword v4, v2, s[20:21]
.LBB1_14:
	s_or_b64 exec, exec, s[4:5]
	s_waitcnt lgkmcnt(0)
	v_add_f32_e32 v1, v1, v3
	v_div_scale_f32 v3, s[4:5], v7, v7, v1
	v_div_scale_f32 v4, vcc, v1, v7, v1
	s_mov_b32 s4, 0x800000
	s_cmp_lg_u64 s[22:23], 0
	v_rcp_f32_e32 v5, v3
	v_fma_f32 v6, -v3, v5, 1.0
	v_fmac_f32_e32 v5, v6, v5
	v_mul_f32_e32 v6, v4, v5
	v_fma_f32 v8, -v3, v6, v4
	v_fmac_f32_e32 v6, v8, v5
	v_fma_f32 v3, -v3, v6, v4
	v_div_fmas_f32 v3, v3, v5, v6
	v_div_fixup_f32 v1, v3, v7, v1
	v_fma_f32 v1, -v2, v2, v1
	v_add_f32_e32 v1, 0x3727c5ac, v1
	v_mul_f32_e32 v3, 0x4b800000, v1
	v_cmp_gt_f32_e32 vcc, s4, v1
	v_cndmask_b32_e32 v1, v1, v3, vcc
	v_rsq_f32_e32 v1, v1
	s_cselect_b64 s[4:5], -1, 0
	s_and_b64 s[4:5], s[0:1], s[4:5]
	v_mul_f32_e32 v3, 0x45800000, v1
	v_cndmask_b32_e32 v3, v1, v3, vcc
	s_and_saveexec_b64 s[0:1], s[4:5]
	s_cbranch_execz .LBB1_16
; %bb.15:
	s_lshl_b64 s[4:5], s[6:7], 2
	s_add_u32 s4, s22, s4
	s_addc_u32 s5, s23, s5
	v_mov_b32_e32 v1, 0
	global_store_dword v1, v3, s[4:5]
.LBB1_16:
	s_or_b64 exec, exec, s[0:1]
	v_cmp_gt_i32_e32 vcc, s24, v0
	s_and_saveexec_b64 s[0:1], vcc
	s_cbranch_execz .LBB1_19
; %bb.17:
	s_mul_i32 s25, s25, s18
	s_sub_i32 s0, s6, s25
	s_sub_i32 s1, s0, s18
	s_cmp_ge_u32 s0, s18
	s_cselect_b32 s0, s1, s0
	s_sub_i32 s1, s0, s18
	s_cmp_ge_u32 s0, s18
	s_cselect_b32 s0, s1, s0
	s_add_u32 s4, s14, s2
	s_mul_i32 s0, s0, s17
	s_addc_u32 s14, s15, s3
	s_ashr_i32 s1, s0, 31
	s_lshl_b64 s[0:1], s[0:1], 2
	s_add_u32 s5, s10, s0
	s_addc_u32 s10, s11, s1
	s_add_u32 s6, s12, s0
	s_addc_u32 s0, s13, s1
	s_abs_i32 s7, s16
	v_cvt_f32_u32_e32 v1, s7
	s_sub_i32 s1, 0, s7
	s_mov_b64 s[2:3], 0
	v_mov_b32_e32 v4, s9
	v_rcp_iflag_f32_e32 v1, v1
	s_ashr_i32 s9, s16, 31
	v_mov_b32_e32 v6, s0
	v_mov_b32_e32 v8, s14
	v_mul_f32_e32 v1, 0x4f7ffffe, v1
	v_cvt_u32_f32_e32 v1, v1
	v_mul_lo_u32 v5, s1, v1
	v_mul_hi_u32 v7, v1, v5
	v_mov_b32_e32 v5, s10
	v_add_u32_e32 v7, v1, v7
.LBB1_18:                               ; =>This Inner Loop Header: Depth=1
	v_sub_u32_e32 v1, 0, v0
	v_max_i32_e32 v9, v0, v1
	v_mul_hi_u32 v10, v9, v7
	v_ashrrev_i32_e32 v1, 31, v0
	v_xor_b32_e32 v12, s9, v1
	v_mul_lo_u32 v11, v10, s7
	v_add_u32_e32 v13, 1, v10
	v_sub_u32_e32 v9, v9, v11
	v_cmp_le_u32_e32 vcc, s7, v9
	v_subrev_u32_e32 v11, s7, v9
	v_cndmask_b32_e32 v10, v10, v13, vcc
	v_cndmask_b32_e32 v9, v9, v11, vcc
	v_add_u32_e32 v11, 1, v10
	v_cmp_le_u32_e32 vcc, s7, v9
	v_cndmask_b32_e32 v9, v10, v11, vcc
	v_xor_b32_e32 v9, v9, v12
	v_sub_u32_e32 v9, v9, v12
	v_lshlrev_b64 v[11:12], 2, v[0:1]
	v_ashrrev_i32_e32 v10, 31, v9
	v_add_co_u32_e32 v13, vcc, s8, v11
	v_lshlrev_b64 v[9:10], 2, v[9:10]
	v_addc_co_u32_e32 v14, vcc, v4, v12, vcc
	global_load_dword v1, v[13:14], off
	v_add_co_u32_e32 v13, vcc, s5, v9
	v_addc_co_u32_e32 v14, vcc, v5, v10, vcc
	v_add_co_u32_e32 v9, vcc, s6, v9
	v_addc_co_u32_e32 v10, vcc, v6, v10, vcc
	global_load_dword v13, v[13:14], off
	v_add_u32_e32 v0, s19, v0
	global_load_dword v14, v[9:10], off
	v_cmp_le_i32_e32 vcc, s24, v0
	v_add_co_u32_e64 v9, s[0:1], s4, v11
	v_addc_co_u32_e64 v10, s[0:1], v8, v12, s[0:1]
	s_or_b64 s[2:3], vcc, s[2:3]
	s_waitcnt vmcnt(2)
	v_sub_f32_e32 v1, v1, v2
	v_mul_f32_e32 v1, v3, v1
	s_waitcnt vmcnt(0)
	v_fmac_f32_e32 v14, v13, v1
	global_store_dword v[9:10], v14, off
	s_andn2_b64 exec, exec, s[2:3]
	s_cbranch_execnz .LBB1_18
.LBB1_19:
	s_endpgm
	.section	.rodata,"a",@progbits
	.p2align	6, 0x0
	.amdhsa_kernel _Z25groupnorm_forward_kernel2PKfS0_S0_PfS1_S1_iiiii
		.amdhsa_group_segment_fixed_size 128
		.amdhsa_private_segment_fixed_size 0
		.amdhsa_kernarg_size 328
		.amdhsa_user_sgpr_count 6
		.amdhsa_user_sgpr_private_segment_buffer 1
		.amdhsa_user_sgpr_dispatch_ptr 0
		.amdhsa_user_sgpr_queue_ptr 0
		.amdhsa_user_sgpr_kernarg_segment_ptr 1
		.amdhsa_user_sgpr_dispatch_id 0
		.amdhsa_user_sgpr_flat_scratch_init 0
		.amdhsa_user_sgpr_private_segment_size 0
		.amdhsa_uses_dynamic_stack 0
		.amdhsa_system_sgpr_private_segment_wavefront_offset 0
		.amdhsa_system_sgpr_workgroup_id_x 1
		.amdhsa_system_sgpr_workgroup_id_y 0
		.amdhsa_system_sgpr_workgroup_id_z 0
		.amdhsa_system_sgpr_workgroup_info 0
		.amdhsa_system_vgpr_workitem_id 0
		.amdhsa_next_free_vgpr 16
		.amdhsa_next_free_sgpr 28
		.amdhsa_reserve_vcc 1
		.amdhsa_reserve_flat_scratch 0
		.amdhsa_float_round_mode_32 0
		.amdhsa_float_round_mode_16_64 0
		.amdhsa_float_denorm_mode_32 3
		.amdhsa_float_denorm_mode_16_64 3
		.amdhsa_dx10_clamp 1
		.amdhsa_ieee_mode 1
		.amdhsa_fp16_overflow 0
		.amdhsa_exception_fp_ieee_invalid_op 0
		.amdhsa_exception_fp_denorm_src 0
		.amdhsa_exception_fp_ieee_div_zero 0
		.amdhsa_exception_fp_ieee_overflow 0
		.amdhsa_exception_fp_ieee_underflow 0
		.amdhsa_exception_fp_ieee_inexact 0
		.amdhsa_exception_int_div_zero 0
	.end_amdhsa_kernel
	.text
.Lfunc_end1:
	.size	_Z25groupnorm_forward_kernel2PKfS0_S0_PfS1_S1_iiiii, .Lfunc_end1-_Z25groupnorm_forward_kernel2PKfS0_S0_PfS1_S1_iiiii
                                        ; -- End function
	.set _Z25groupnorm_forward_kernel2PKfS0_S0_PfS1_S1_iiiii.num_vgpr, 16
	.set _Z25groupnorm_forward_kernel2PKfS0_S0_PfS1_S1_iiiii.num_agpr, 0
	.set _Z25groupnorm_forward_kernel2PKfS0_S0_PfS1_S1_iiiii.numbered_sgpr, 28
	.set _Z25groupnorm_forward_kernel2PKfS0_S0_PfS1_S1_iiiii.num_named_barrier, 0
	.set _Z25groupnorm_forward_kernel2PKfS0_S0_PfS1_S1_iiiii.private_seg_size, 0
	.set _Z25groupnorm_forward_kernel2PKfS0_S0_PfS1_S1_iiiii.uses_vcc, 1
	.set _Z25groupnorm_forward_kernel2PKfS0_S0_PfS1_S1_iiiii.uses_flat_scratch, 0
	.set _Z25groupnorm_forward_kernel2PKfS0_S0_PfS1_S1_iiiii.has_dyn_sized_stack, 0
	.set _Z25groupnorm_forward_kernel2PKfS0_S0_PfS1_S1_iiiii.has_recursion, 0
	.set _Z25groupnorm_forward_kernel2PKfS0_S0_PfS1_S1_iiiii.has_indirect_call, 0
	.section	.AMDGPU.csdata,"",@progbits
; Kernel info:
; codeLenInByte = 1692
; TotalNumSgprs: 32
; NumVgprs: 16
; ScratchSize: 0
; MemoryBound: 0
; FloatMode: 240
; IeeeMode: 1
; LDSByteSize: 128 bytes/workgroup (compile time only)
; SGPRBlocks: 3
; VGPRBlocks: 3
; NumSGPRsForWavesPerEU: 32
; NumVGPRsForWavesPerEU: 16
; Occupancy: 10
; WaveLimiterHint : 0
; COMPUTE_PGM_RSRC2:SCRATCH_EN: 0
; COMPUTE_PGM_RSRC2:USER_SGPR: 6
; COMPUTE_PGM_RSRC2:TRAP_HANDLER: 0
; COMPUTE_PGM_RSRC2:TGID_X_EN: 1
; COMPUTE_PGM_RSRC2:TGID_Y_EN: 0
; COMPUTE_PGM_RSRC2:TGID_Z_EN: 0
; COMPUTE_PGM_RSRC2:TIDIG_COMP_CNT: 0
	.text
	.protected	_Z25groupnorm_backward_kernelPKfS0_S0_S0_S0_PfS1_S1_iiiii ; -- Begin function _Z25groupnorm_backward_kernelPKfS0_S0_S0_S0_PfS1_S1_iiiii
	.globl	_Z25groupnorm_backward_kernelPKfS0_S0_S0_S0_PfS1_S1_iiiii
	.p2align	8
	.type	_Z25groupnorm_backward_kernelPKfS0_S0_S0_S0_PfS1_S1_iiiii,@function
_Z25groupnorm_backward_kernelPKfS0_S0_S0_S0_PfS1_S1_iiiii: ; @_Z25groupnorm_backward_kernelPKfS0_S0_S0_S0_PfS1_S1_iiiii
; %bb.0:
	s_load_dwordx4 s[24:27], s[4:5], 0x48
	s_load_dword s0, s[4:5], 0x64
	s_load_dwordx8 s[8:15], s[4:5], 0x0
	s_mov_b32 s7, 0
	s_mov_b32 s1, s7
	s_waitcnt lgkmcnt(0)
	v_cvt_f32_u32_e32 v1, s26
	s_sub_i32 s2, 0, s26
	s_and_b32 s27, s0, 0xffff
	s_mul_i32 s34, s25, s24
	v_rcp_iflag_f32_e32 v1, v1
	s_mul_i32 s0, s34, s6
	s_load_dwordx8 s[16:23], s[4:5], 0x20
	v_cmp_gt_i32_e32 vcc, s34, v0
	v_mul_f32_e32 v1, 0x4f7ffffe, v1
	v_cvt_u32_f32_e32 v1, v1
	v_mov_b32_e32 v4, 0
	v_mov_b32_e32 v3, 0
	v_readfirstlane_b32 s3, v1
	s_mul_i32 s2, s2, s3
	s_mul_hi_u32 s2, s3, s2
	s_add_i32 s3, s3, s2
	s_mul_hi_u32 s2, s6, s3
	s_mul_i32 s2, s2, s26
	s_sub_i32 s2, s6, s2
	s_sub_i32 s3, s2, s26
	s_cmp_ge_u32 s2, s26
	s_cselect_b32 s2, s3, s2
	s_sub_i32 s3, s2, s26
	s_cmp_ge_u32 s2, s26
	s_cselect_b32 s2, s3, s2
	s_lshl_b64 s[4:5], s[0:1], 2
	s_add_u32 s26, s8, s4
	s_addc_u32 s28, s9, s5
	s_mul_i32 s0, s2, s25
	s_add_u32 s29, s10, s4
	s_addc_u32 s30, s11, s5
	s_ashr_i32 s1, s0, 31
	s_lshl_b64 s[2:3], s[0:1], 2
	s_waitcnt lgkmcnt(0)
	s_add_u32 s16, s16, s2
	s_addc_u32 s17, s17, s3
	s_lshl_b64 s[0:1], s[6:7], 2
	s_add_u32 s6, s12, s0
	s_addc_u32 s7, s13, s1
	s_add_u32 s0, s14, s0
	s_addc_u32 s1, s15, s1
	s_load_dword s31, s[6:7], 0x0
	s_load_dword s33, s[0:1], 0x0
	s_and_saveexec_b64 s[6:7], vcc
	s_cbranch_execz .LBB2_4
; %bb.1:
	s_abs_i32 s14, s24
	v_cvt_f32_u32_e32 v1, s14
	s_sub_i32 s0, 0, s14
	s_ashr_i32 s15, s24, 31
	v_mov_b32_e32 v4, 0
	v_rcp_iflag_f32_e32 v1, v1
	s_mov_b64 s[12:13], 0
	v_mov_b32_e32 v5, s17
	v_mov_b32_e32 v6, s28
	v_mul_f32_e32 v1, 0x4f7ffffe, v1
	v_cvt_u32_f32_e32 v1, v1
	v_mov_b32_e32 v7, s30
	v_mov_b32_e32 v3, 0
	v_mul_lo_u32 v2, s0, v1
	v_mul_hi_u32 v2, v1, v2
	v_add_u32_e32 v8, v1, v2
	v_mov_b32_e32 v1, v0
.LBB2_2:                                ; =>This Inner Loop Header: Depth=1
	v_sub_u32_e32 v2, 0, v1
	v_max_i32_e32 v9, v1, v2
	v_mul_hi_u32 v10, v9, v8
	v_ashrrev_i32_e32 v2, 31, v1
	v_xor_b32_e32 v12, s15, v2
	v_mul_lo_u32 v11, v10, s14
	v_add_u32_e32 v13, 1, v10
	v_sub_u32_e32 v9, v9, v11
	v_cmp_le_u32_e64 s[0:1], s14, v9
	v_subrev_u32_e32 v11, s14, v9
	v_cndmask_b32_e64 v10, v10, v13, s[0:1]
	v_cndmask_b32_e64 v9, v9, v11, s[0:1]
	v_add_u32_e32 v11, 1, v10
	v_cmp_le_u32_e64 s[0:1], s14, v9
	v_cndmask_b32_e64 v9, v10, v11, s[0:1]
	v_xor_b32_e32 v9, v9, v12
	v_sub_u32_e32 v9, v9, v12
	v_ashrrev_i32_e32 v10, 31, v9
	v_lshlrev_b64 v[9:10], 2, v[9:10]
	v_lshlrev_b64 v[11:12], 2, v[1:2]
	v_add_co_u32_e64 v9, s[0:1], s16, v9
	v_addc_co_u32_e64 v10, s[0:1], v5, v10, s[0:1]
	v_add_co_u32_e64 v13, s[0:1], s26, v11
	v_addc_co_u32_e64 v14, s[0:1], v6, v12, s[0:1]
	;; [unrolled: 2-line block ×3, first 2 shown]
	global_load_dword v2, v[11:12], off
	global_load_dword v15, v[13:14], off
	global_load_dword v16, v[9:10], off
	v_add_u32_e32 v1, s27, v1
	v_cmp_le_i32_e64 s[0:1], s34, v1
	s_or_b64 s[12:13], s[0:1], s[12:13]
	s_waitcnt vmcnt(2) lgkmcnt(0)
	v_subrev_f32_e32 v2, s31, v2
	v_mul_f32_e32 v2, s33, v2
	s_waitcnt vmcnt(0)
	v_mul_f32_e32 v9, v16, v15
	v_fmac_f32_e32 v4, v16, v15
	v_fmac_f32_e32 v3, v9, v2
	s_andn2_b64 exec, exec, s[12:13]
	s_cbranch_execnz .LBB2_2
; %bb.3:
	s_or_b64 exec, exec, s[12:13]
.LBB2_4:
	s_or_b64 exec, exec, s[6:7]
	v_mbcnt_lo_u32_b32 v1, -1, 0
	v_mbcnt_hi_u32_b32 v1, -1, v1
	v_and_b32_e32 v2, 64, v1
	v_add_u32_e32 v2, 64, v2
	v_xor_b32_e32 v5, 32, v1
	v_cmp_lt_i32_e64 s[0:1], v5, v2
	v_cndmask_b32_e64 v5, v1, v5, s[0:1]
	v_lshlrev_b32_e32 v10, 2, v5
	ds_bpermute_b32 v5, v10, v4
	v_xor_b32_e32 v6, 16, v1
	v_cmp_lt_i32_e64 s[0:1], v6, v2
	ds_bpermute_b32 v7, v10, v3
	v_lshrrev_b32_e32 v19, 6, v0
	s_waitcnt lgkmcnt(0)
	v_add_f32_e32 v4, v4, v5
	v_cndmask_b32_e64 v5, v1, v6, s[0:1]
	v_lshlrev_b32_e32 v11, 2, v5
	ds_bpermute_b32 v5, v11, v4
	v_xor_b32_e32 v6, 8, v1
	v_cmp_lt_i32_e64 s[0:1], v6, v2
	v_add_f32_e32 v3, v3, v7
	s_lshr_b32 s14, s27, 6
	s_waitcnt lgkmcnt(0)
	v_add_f32_e32 v4, v4, v5
	v_cndmask_b32_e64 v5, v1, v6, s[0:1]
	v_lshlrev_b32_e32 v12, 2, v5
	ds_bpermute_b32 v5, v12, v4
	v_xor_b32_e32 v6, 4, v1
	v_cmp_lt_i32_e64 s[0:1], v6, v2
	v_and_b32_e32 v18, 63, v0
	v_lshlrev_b32_e32 v16, 2, v19
	s_waitcnt lgkmcnt(0)
	v_add_f32_e32 v4, v4, v5
	v_cndmask_b32_e64 v5, v1, v6, s[0:1]
	ds_bpermute_b32 v6, v11, v3
	v_lshlrev_b32_e32 v13, 2, v5
	ds_bpermute_b32 v5, v13, v4
	s_waitcnt lgkmcnt(1)
	v_add_f32_e32 v3, v3, v6
	ds_bpermute_b32 v6, v12, v3
	s_waitcnt lgkmcnt(1)
	v_add_f32_e32 v4, v4, v5
	v_xor_b32_e32 v5, 2, v1
	v_cmp_lt_i32_e64 s[0:1], v5, v2
	v_cndmask_b32_e64 v5, v1, v5, s[0:1]
	s_waitcnt lgkmcnt(0)
	v_add_f32_e32 v3, v3, v6
	ds_bpermute_b32 v6, v13, v3
	v_lshlrev_b32_e32 v14, 2, v5
	ds_bpermute_b32 v5, v14, v4
	s_waitcnt lgkmcnt(1)
	v_add_f32_e32 v3, v3, v6
	ds_bpermute_b32 v6, v14, v3
	s_waitcnt lgkmcnt(1)
	v_add_f32_e32 v4, v4, v5
	v_xor_b32_e32 v5, 1, v1
	v_cmp_lt_i32_e64 s[0:1], v5, v2
	v_cndmask_b32_e64 v1, v1, v5, s[0:1]
	v_lshlrev_b32_e32 v15, 2, v1
	s_waitcnt lgkmcnt(0)
	v_add_f32_e32 v2, v3, v6
	ds_bpermute_b32 v1, v15, v4
	ds_bpermute_b32 v3, v15, v2
	v_cmp_gt_u32_e64 s[0:1], s14, v18
	s_waitcnt lgkmcnt(1)
	v_add_f32_e32 v1, v4, v1
	s_waitcnt lgkmcnt(0)
	v_add_f32_e32 v2, v2, v3
	ds_write2_b32 v16, v1, v2 offset1:16
	v_mov_b32_e32 v1, 0
	v_lshlrev_b32_e32 v3, 2, v18
	v_mov_b32_e32 v2, 0
	s_waitcnt lgkmcnt(0)
	s_barrier
	s_and_saveexec_b64 s[6:7], s[0:1]
; %bb.5:
	ds_read_b32 v2, v3
; %bb.6:
	s_or_b64 exec, exec, s[6:7]
	s_and_saveexec_b64 s[6:7], s[0:1]
; %bb.7:
	ds_read_b32 v1, v3 offset:64
; %bb.8:
	s_or_b64 exec, exec, s[6:7]
	s_waitcnt lgkmcnt(0)
	ds_bpermute_b32 v4, v10, v2
	ds_bpermute_b32 v5, v10, v1
	s_waitcnt lgkmcnt(1)
	v_add_f32_e32 v2, v2, v4
	s_waitcnt lgkmcnt(0)
	v_add_f32_e32 v1, v1, v5
	ds_bpermute_b32 v4, v11, v2
	ds_bpermute_b32 v5, v11, v1
	s_waitcnt lgkmcnt(1)
	v_add_f32_e32 v2, v2, v4
	s_waitcnt lgkmcnt(0)
	v_add_f32_e32 v1, v1, v5
	;; [unrolled: 6-line block ×5, first 2 shown]
	ds_bpermute_b32 v4, v15, v1
	ds_bpermute_b32 v5, v15, v2
	s_and_saveexec_b64 s[6:7], vcc
	s_cbranch_execz .LBB2_11
; %bb.9:
	s_waitcnt lgkmcnt(0)
	v_add_f32_e32 v2, v2, v5
	v_cvt_f32_i32_e32 v5, s34
	v_add_f32_e32 v1, v1, v4
	s_add_u32 s15, s18, s4
	s_addc_u32 s18, s19, s5
	v_div_scale_f32 v4, s[0:1], v5, v5, v1
	s_abs_i32 s35, s24
	s_abs_i32 s36, s25
	s_ashr_i32 s19, s24, 31
	s_mov_b64 s[12:13], 0
	v_rcp_f32_e32 v6, v4
	v_fma_f32 v7, -v4, v6, 1.0
	v_fmac_f32_e32 v6, v7, v6
	v_div_scale_f32 v7, vcc, v1, v5, v1
	v_mul_f32_e32 v8, v7, v6
	v_fma_f32 v9, -v4, v8, v7
	v_fmac_f32_e32 v8, v9, v6
	v_fma_f32 v4, -v4, v8, v7
	v_div_fmas_f32 v4, v4, v6, v8
	v_div_fixup_f32 v4, v4, v5, v1
	v_div_scale_f32 v1, s[0:1], v5, v5, v2
	s_sub_i32 s0, 0, s35
	v_rcp_f32_e32 v6, v1
	v_fma_f32 v7, -v1, v6, 1.0
	v_fmac_f32_e32 v6, v7, v6
	v_div_scale_f32 v7, vcc, v2, v5, v2
	v_mul_f32_e32 v8, v7, v6
	v_fma_f32 v9, -v1, v8, v7
	v_fmac_f32_e32 v8, v9, v6
	v_fma_f32 v1, -v1, v8, v7
	v_div_fmas_f32 v1, v1, v6, v8
	v_div_fixup_f32 v5, v1, v5, v2
	v_cvt_f32_u32_e32 v1, s35
	v_rcp_iflag_f32_e32 v1, v1
	v_mul_f32_e32 v1, 0x4f7ffffe, v1
	v_cvt_u32_f32_e32 v1, v1
	v_mul_lo_u32 v2, s0, v1
	s_sub_i32 s0, 0, s36
	v_mul_hi_u32 v2, v1, v2
	v_add_u32_e32 v6, v1, v2
	v_cvt_f32_u32_e32 v1, s36
	v_rcp_iflag_f32_e32 v1, v1
	v_mul_f32_e32 v1, 0x4f7ffffe, v1
	v_cvt_u32_f32_e32 v1, v1
	v_mul_lo_u32 v2, s0, v1
	v_mul_hi_u32 v2, v1, v2
	v_add_u32_e32 v7, v1, v2
	v_mov_b32_e32 v1, v0
.LBB2_10:                               ; =>This Inner Loop Header: Depth=1
	v_sub_u32_e32 v2, 0, v1
	v_max_i32_e32 v17, v1, v2
	v_mul_hi_u32 v20, v17, v6
	v_ashrrev_i32_e32 v2, 31, v1
	v_lshlrev_b64 v[8:9], 2, v[1:2]
	v_xor_b32_e32 v2, s19, v2
	v_mul_lo_u32 v22, v20, s35
	v_add_u32_e32 v23, 1, v20
	v_mov_b32_e32 v21, s28
	v_add_u32_e32 v1, s27, v1
	v_sub_u32_e32 v17, v17, v22
	v_cmp_le_u32_e32 vcc, s35, v17
	v_subrev_u32_e32 v22, s35, v17
	v_cndmask_b32_e32 v20, v20, v23, vcc
	v_cndmask_b32_e32 v17, v17, v22, vcc
	v_add_u32_e32 v22, 1, v20
	v_cmp_le_u32_e32 vcc, s35, v17
	v_cndmask_b32_e32 v17, v20, v22, vcc
	v_xor_b32_e32 v17, v17, v2
	v_sub_u32_e32 v2, v17, v2
	v_sub_u32_e32 v17, 0, v2
	v_max_i32_e32 v17, v2, v17
	v_mul_hi_u32 v22, v17, v7
	v_add_co_u32_e32 v20, vcc, s26, v8
	v_addc_co_u32_e32 v21, vcc, v21, v9, vcc
	v_mul_lo_u32 v22, v22, s36
	global_load_dword v23, v[20:21], off
	v_mov_b32_e32 v21, s30
	v_add_co_u32_e32 v20, vcc, s29, v8
	v_addc_co_u32_e32 v21, vcc, v21, v9, vcc
	v_sub_u32_e32 v17, v17, v22
	global_load_dword v24, v[20:21], off
	v_subrev_u32_e32 v20, s36, v17
	v_cmp_le_u32_e32 vcc, s36, v17
	v_cndmask_b32_e32 v17, v17, v20, vcc
	v_subrev_u32_e32 v20, s36, v17
	v_cmp_le_u32_e32 vcc, s36, v17
	v_ashrrev_i32_e32 v2, 31, v2
	v_cndmask_b32_e32 v17, v17, v20, vcc
	v_xor_b32_e32 v17, v17, v2
	v_sub_u32_e32 v20, v17, v2
	v_ashrrev_i32_e32 v21, 31, v20
	v_lshlrev_b64 v[20:21], 2, v[20:21]
	v_mov_b32_e32 v2, s17
	v_add_co_u32_e32 v20, vcc, s16, v20
	v_addc_co_u32_e32 v21, vcc, v2, v21, vcc
	global_load_dword v2, v[20:21], off
	v_mov_b32_e32 v17, s18
	v_add_co_u32_e64 v8, s[0:1], s15, v8
	v_addc_co_u32_e64 v9, s[0:1], v17, v9, s[0:1]
	v_cmp_le_i32_e32 vcc, s34, v1
	s_or_b64 s[12:13], vcc, s[12:13]
	s_waitcnt vmcnt(1)
	v_subrev_f32_e32 v17, s31, v24
	v_mul_f32_e32 v17, s33, v17
	s_waitcnt vmcnt(0)
	v_fma_f32 v2, v23, v2, -v4
	v_fma_f32 v2, -v5, v17, v2
	v_mul_f32_e32 v2, s33, v2
	global_store_dword v[8:9], v2, off
	s_andn2_b64 exec, exec, s[12:13]
	s_cbranch_execnz .LBB2_10
.LBB2_11:
	s_or_b64 exec, exec, s[6:7]
	v_cvt_f32_u32_e32 v1, s27
	s_add_u32 s34, s20, s2
	s_addc_u32 s35, s21, s3
	s_add_u32 s36, s22, s2
	v_rcp_iflag_f32_e32 v1, v1
	s_addc_u32 s37, s23, s3
	s_sub_i32 s0, 0, s27
	v_or_b32_e32 v17, 64, v16
	v_mul_f32_e32 v1, 0x4f7ffffe, v1
	v_cvt_u32_f32_e32 v1, v1
	v_readfirstlane_b32 s1, v1
	s_mul_i32 s0, s0, s1
	s_mul_hi_u32 s0, s1, s0
	s_add_i32 s1, s1, s0
	s_mul_hi_u32 s0, s24, s1
	s_mul_i32 s0, s0, s27
	s_sub_i32 s0, s24, s0
	s_sub_i32 s1, s0, s27
	s_cmp_ge_u32 s0, s27
	s_cselect_b32 s0, s1, s0
	s_sub_i32 s1, s0, s27
	s_cmp_ge_u32 s0, s27
	s_cselect_b32 s0, s1, s0
	s_cmp_lg_u32 s0, 0
	s_cbranch_scc0 .LBB2_26
; %bb.12:
	v_cvt_f32_u32_e32 v1, s14
	s_sub_i32 s1, 0, s14
	s_add_i32 s0, s25, s14
	s_add_i32 s0, s0, -1
	v_rcp_iflag_f32_e32 v1, v1
	s_ashr_i32 s2, s0, 31
	s_abs_i32 s0, s0
	v_mul_f32_e32 v1, 0x4f7ffffe, v1
	v_cvt_u32_f32_e32 v1, v1
	v_readfirstlane_b32 s3, v1
	s_mul_i32 s1, s1, s3
	s_mul_hi_u32 s1, s3, s1
	s_add_i32 s3, s3, s1
	s_mul_hi_u32 s1, s0, s3
	s_mul_i32 s3, s1, s14
	s_sub_i32 s0, s0, s3
	s_add_i32 s6, s1, 1
	s_sub_i32 s3, s0, s14
	s_cmp_ge_u32 s0, s14
	s_cselect_b32 s1, s6, s1
	s_cselect_b32 s0, s3, s0
	s_add_i32 s3, s1, 1
	s_cmp_ge_u32 s0, s14
	s_cselect_b32 s0, s3, s1
	s_xor_b32 s0, s0, s2
	s_sub_i32 s12, s0, s2
	s_cmp_lt_i32 s12, 1
	s_cbranch_scc1 .LBB2_25
; %bb.13:
	v_mov_b32_e32 v1, s5
	s_waitcnt lgkmcnt(1)
	v_add_co_u32_e32 v4, vcc, s4, v3
	v_addc_co_u32_e32 v1, vcc, 0, v1, vcc
	v_mov_b32_e32 v3, s11
	v_add_co_u32_e32 v20, vcc, s10, v4
	v_addc_co_u32_e32 v21, vcc, v3, v1, vcc
	v_mul_lo_u32 v3, s24, v19
	s_waitcnt lgkmcnt(0)
	v_mov_b32_e32 v5, s9
	v_add_co_u32_e32 v22, vcc, s8, v4
	v_cmp_gt_i32_e64 s[0:1], s24, v18
	s_mov_b32 s13, 0
	v_cmp_eq_u32_e64 s[2:3], 0, v18
	v_mov_b32_e32 v2, 0
	s_mul_i32 s15, s24, s14
	v_addc_co_u32_e32 v23, vcc, v5, v1, vcc
	s_branch .LBB2_15
.LBB2_14:                               ;   in Loop: Header=BB2_15 Depth=1
	s_or_b64 exec, exec, s[6:7]
	s_add_i32 s13, s13, 1
	s_cmp_lg_u32 s13, s12
	v_add_u32_e32 v3, s15, v3
	s_cbranch_scc0 .LBB2_25
.LBB2_15:                               ; =>This Loop Header: Depth=1
                                        ;     Child Loop BB2_18 Depth 2
                                        ;     Child Loop BB2_22 Depth 2
	;; [unrolled: 1-line block ×3, first 2 shown]
	s_mul_i32 s4, s13, s14
	v_add_u32_e32 v1, s4, v19
	v_cmp_gt_i32_e32 vcc, s25, v1
	s_and_saveexec_b64 s[6:7], vcc
	s_cbranch_execz .LBB2_14
; %bb.16:                               ;   in Loop: Header=BB2_15 Depth=1
	v_mov_b32_e32 v8, 0
	v_mov_b32_e32 v9, 0
	s_and_saveexec_b64 s[8:9], s[0:1]
	s_cbranch_execz .LBB2_20
; %bb.17:                               ;   in Loop: Header=BB2_15 Depth=1
	v_ashrrev_i32_e32 v4, 31, v3
	v_lshlrev_b64 v[6:7], 2, v[3:4]
	v_mov_b32_e32 v8, 0
	v_add_co_u32_e32 v4, vcc, v20, v6
	v_addc_co_u32_e32 v5, vcc, v21, v7, vcc
	v_add_co_u32_e32 v6, vcc, v22, v6
	v_addc_co_u32_e32 v7, vcc, v23, v7, vcc
	s_mov_b64 s[10:11], 0
	v_mov_b32_e32 v24, v18
	v_mov_b32_e32 v9, 0
.LBB2_18:                               ;   Parent Loop BB2_15 Depth=1
                                        ; =>  This Inner Loop Header: Depth=2
	s_waitcnt lgkmcnt(0)
	global_load_dword v25, v[4:5], off
	global_load_dword v26, v[6:7], off
	v_add_co_u32_e32 v4, vcc, 0x100, v4
	v_add_u32_e32 v24, 64, v24
	v_addc_co_u32_e32 v5, vcc, 0, v5, vcc
	v_add_co_u32_e32 v6, vcc, 0x100, v6
	v_cmp_le_i32_e64 s[4:5], s24, v24
	v_addc_co_u32_e32 v7, vcc, 0, v7, vcc
	s_or_b64 s[10:11], s[4:5], s[10:11]
	s_waitcnt vmcnt(1)
	v_subrev_f32_e32 v25, s31, v25
	v_mul_f32_e32 v25, s33, v25
	s_waitcnt vmcnt(0)
	v_add_f32_e32 v8, v8, v26
	v_fmac_f32_e32 v9, v26, v25
	s_andn2_b64 exec, exec, s[10:11]
	s_cbranch_execnz .LBB2_18
; %bb.19:                               ;   in Loop: Header=BB2_15 Depth=1
	s_or_b64 exec, exec, s[10:11]
.LBB2_20:                               ;   in Loop: Header=BB2_15 Depth=1
	s_or_b64 exec, exec, s[8:9]
	ds_bpermute_b32 v4, v10, v9
	ds_bpermute_b32 v5, v10, v8
	s_waitcnt lgkmcnt(1)
	v_add_f32_e32 v4, v9, v4
	s_waitcnt lgkmcnt(0)
	v_add_f32_e32 v5, v8, v5
	ds_bpermute_b32 v6, v11, v4
	ds_bpermute_b32 v7, v11, v5
	s_waitcnt lgkmcnt(1)
	v_add_f32_e32 v4, v4, v6
	s_waitcnt lgkmcnt(0)
	v_add_f32_e32 v5, v5, v7
	;; [unrolled: 6-line block ×5, first 2 shown]
	ds_bpermute_b32 v26, v15, v8
	ds_bpermute_b32 v25, v15, v24
	s_and_b64 exec, exec, s[2:3]
	s_cbranch_execz .LBB2_14
; %bb.21:                               ;   in Loop: Header=BB2_15 Depth=1
	v_lshlrev_b64 v[4:5], 2, v[1:2]
	v_mov_b32_e32 v1, s35
	v_add_co_u32_e32 v6, vcc, s34, v4
	v_addc_co_u32_e32 v7, vcc, v1, v5, vcc
	global_load_dword v9, v[6:7], off
	s_waitcnt lgkmcnt(1)
	v_add_f32_e32 v1, v8, v26
	s_mov_b64 s[4:5], 0
.LBB2_22:                               ;   Parent Loop BB2_15 Depth=1
                                        ; =>  This Inner Loop Header: Depth=2
	s_waitcnt vmcnt(0)
	v_add_f32_e32 v8, v9, v1
	global_atomic_cmpswap v8, v[6:7], v[8:9], off glc
	s_waitcnt vmcnt(0)
	v_cmp_eq_u32_e32 vcc, v8, v9
	s_or_b64 s[4:5], vcc, s[4:5]
	v_mov_b32_e32 v9, v8
	s_andn2_b64 exec, exec, s[4:5]
	s_cbranch_execnz .LBB2_22
; %bb.23:                               ;   in Loop: Header=BB2_15 Depth=1
	s_or_b64 exec, exec, s[4:5]
	v_mov_b32_e32 v1, s37
	v_add_co_u32_e32 v4, vcc, s36, v4
	v_addc_co_u32_e32 v5, vcc, v1, v5, vcc
	global_load_dword v7, v[4:5], off
	s_waitcnt lgkmcnt(0)
	v_add_f32_e32 v1, v24, v25
	s_mov_b64 s[4:5], 0
.LBB2_24:                               ;   Parent Loop BB2_15 Depth=1
                                        ; =>  This Inner Loop Header: Depth=2
	s_waitcnt vmcnt(0)
	v_add_f32_e32 v6, v7, v1
	global_atomic_cmpswap v6, v[4:5], v[6:7], off glc
	s_waitcnt vmcnt(0)
	v_cmp_eq_u32_e32 vcc, v6, v7
	s_or_b64 s[4:5], vcc, s[4:5]
	v_mov_b32_e32 v7, v6
	s_andn2_b64 exec, exec, s[4:5]
	s_cbranch_execnz .LBB2_24
	s_branch .LBB2_14
.LBB2_25:
	s_cbranch_execz .LBB2_27
	s_branch .LBB2_52
.LBB2_26:
.LBB2_27:
	s_cmp_lt_i32 s25, 1
	s_cbranch_scc1 .LBB2_52
; %bb.28:
	s_ashr_i32 s17, s24, 31
	s_cmp_gt_u32 s27, 63
	s_cselect_b64 s[6:7], -1, 0
	s_add_i32 s8, s14, -1
	s_bfe_u32 s38, s27, 0x30006
	s_cmp_gt_u32 s8, 6
	s_cselect_b64 s[8:9], -1, 0
	s_and_b32 s39, s14, 0x3f8
	v_cndmask_b32_e64 v1, 0, 1, s[6:7]
	s_mov_b32 s16, s24
	s_mov_b32 s11, 0
	s_cmp_lg_u32 s38, 0
	v_cmp_ne_u32_e64 s[6:7], 1, v1
	v_cndmask_b32_e64 v1, 0, 1, s[8:9]
	v_cmp_gt_i32_e64 s[0:1], s24, v0
	v_cmp_eq_u32_e64 s[2:3], 0, v18
	v_cmp_eq_u32_e64 s[4:5], 0, v0
	s_cselect_b64 s[12:13], -1, 0
	v_cmp_ne_u32_e64 s[8:9], 1, v1
	v_mov_b32_e32 v3, 0
	s_lshl_b64 s[14:15], s[16:17], 2
	s_mov_b32 s10, s11
	s_branch .LBB2_30
.LBB2_29:                               ;   in Loop: Header=BB2_30 Depth=1
	s_or_b64 exec, exec, s[16:17]
	s_add_u32 s26, s26, s14
	s_addc_u32 s28, s28, s15
	s_add_u32 s29, s29, s14
	s_addc_u32 s30, s30, s15
	s_add_i32 s10, s10, 1
	s_cmp_eq_u32 s10, s25
	s_cbranch_scc1 .LBB2_52
.LBB2_30:                               ; =>This Loop Header: Depth=1
                                        ;     Child Loop BB2_32 Depth 2
                                        ;     Child Loop BB2_40 Depth 2
	;; [unrolled: 1-line block ×5, first 2 shown]
	s_waitcnt lgkmcnt(1)
	v_mov_b32_e32 v4, 0
	s_waitcnt lgkmcnt(0)
	v_mov_b32_e32 v5, 0
	s_and_saveexec_b64 s[16:17], s[0:1]
	s_cbranch_execz .LBB2_34
; %bb.31:                               ;   in Loop: Header=BB2_30 Depth=1
	v_mov_b32_e32 v4, 0
	s_mov_b64 s[18:19], 0
	v_mov_b32_e32 v6, s28
	v_mov_b32_e32 v7, s30
	;; [unrolled: 1-line block ×4, first 2 shown]
.LBB2_32:                               ;   Parent Loop BB2_30 Depth=1
                                        ; =>  This Inner Loop Header: Depth=2
	v_ashrrev_i32_e32 v2, 31, v1
	v_lshlrev_b64 v[8:9], 2, v[1:2]
	v_add_u32_e32 v1, s27, v1
	v_add_co_u32_e32 v18, vcc, s26, v8
	v_addc_co_u32_e32 v19, vcc, v6, v9, vcc
	v_add_co_u32_e32 v8, vcc, s29, v8
	v_addc_co_u32_e32 v9, vcc, v7, v9, vcc
	global_load_dword v8, v[8:9], off
	v_cmp_le_i32_e32 vcc, s24, v1
	global_load_dword v2, v[18:19], off
	s_or_b64 s[18:19], vcc, s[18:19]
	s_waitcnt vmcnt(1)
	v_subrev_f32_e32 v8, s31, v8
	v_mul_f32_e32 v8, s33, v8
	s_waitcnt vmcnt(0)
	v_add_f32_e32 v4, v4, v2
	v_fmac_f32_e32 v5, v2, v8
	s_andn2_b64 exec, exec, s[18:19]
	s_cbranch_execnz .LBB2_32
; %bb.33:                               ;   in Loop: Header=BB2_30 Depth=1
	s_or_b64 exec, exec, s[18:19]
.LBB2_34:                               ;   in Loop: Header=BB2_30 Depth=1
	s_or_b64 exec, exec, s[16:17]
	ds_bpermute_b32 v1, v10, v5
	ds_bpermute_b32 v2, v10, v4
	s_waitcnt lgkmcnt(1)
	v_add_f32_e32 v1, v5, v1
	s_waitcnt lgkmcnt(0)
	v_add_f32_e32 v2, v4, v2
	ds_bpermute_b32 v4, v11, v1
	ds_bpermute_b32 v5, v11, v2
	s_waitcnt lgkmcnt(1)
	v_add_f32_e32 v1, v1, v4
	s_waitcnt lgkmcnt(0)
	v_add_f32_e32 v2, v2, v5
	;; [unrolled: 6-line block ×5, first 2 shown]
	ds_bpermute_b32 v2, v15, v1
	ds_bpermute_b32 v5, v15, v4
	s_and_saveexec_b64 s[16:17], s[2:3]
	s_cbranch_execz .LBB2_36
; %bb.35:                               ;   in Loop: Header=BB2_30 Depth=1
	s_waitcnt lgkmcnt(1)
	v_add_f32_e32 v1, v1, v2
	s_waitcnt lgkmcnt(0)
	v_add_f32_e32 v4, v4, v5
	ds_write_b32 v16, v1
	ds_write_b32 v17, v4
.LBB2_36:                               ;   in Loop: Header=BB2_30 Depth=1
	s_or_b64 exec, exec, s[16:17]
	s_waitcnt vmcnt(0) lgkmcnt(0)
	s_barrier
	s_and_saveexec_b64 s[16:17], s[4:5]
	s_cbranch_execz .LBB2_29
; %bb.37:                               ;   in Loop: Header=BB2_30 Depth=1
	s_and_b64 vcc, exec, s[6:7]
	s_cbranch_vccnz .LBB2_45
; %bb.38:                               ;   in Loop: Header=BB2_30 Depth=1
	s_mov_b32 s18, 0
	v_mov_b32_e32 v4, 0
	v_mov_b32_e32 v1, 0
	s_and_b64 vcc, exec, s[8:9]
	s_cbranch_vccnz .LBB2_42
; %bb.39:                               ;   in Loop: Header=BB2_30 Depth=1
	s_mov_b32 s19, 0
.LBB2_40:                               ;   Parent Loop BB2_30 Depth=1
                                        ; =>  This Inner Loop Header: Depth=2
	v_mov_b32_e32 v2, s18
	ds_read_b128 v[5:8], v2
	ds_read_b128 v[18:21], v2 offset:16
	ds_read_b128 v[22:25], v2 offset:64
	s_add_i32 s19, s19, 8
	s_add_i32 s18, s18, 32
	s_waitcnt lgkmcnt(2)
	v_add_f32_e32 v1, v1, v5
	v_add_f32_e32 v1, v1, v6
	s_waitcnt lgkmcnt(0)
	v_add_f32_e32 v4, v4, v22
	v_add_f32_e32 v4, v4, v23
	;; [unrolled: 1-line block ×6, first 2 shown]
	ds_read_b128 v[4:7], v2 offset:80
	v_add_f32_e32 v1, v1, v18
	v_add_f32_e32 v1, v1, v19
	;; [unrolled: 1-line block ×4, first 2 shown]
	s_waitcnt lgkmcnt(0)
	v_add_f32_e32 v2, v8, v4
	v_add_f32_e32 v2, v2, v5
	;; [unrolled: 1-line block ×4, first 2 shown]
	s_cmp_eq_u32 s39, s19
	s_cbranch_scc0 .LBB2_40
; %bb.41:                               ;   in Loop: Header=BB2_30 Depth=1
	s_mov_b32 s18, s39
.LBB2_42:                               ;   in Loop: Header=BB2_30 Depth=1
	s_andn2_b64 vcc, exec, s[12:13]
	s_cbranch_vccnz .LBB2_46
; %bb.43:                               ;   in Loop: Header=BB2_30 Depth=1
	s_lshl_b32 s18, s18, 2
	s_mov_b32 s19, s38
.LBB2_44:                               ;   Parent Loop BB2_30 Depth=1
                                        ; =>  This Inner Loop Header: Depth=2
	v_mov_b32_e32 v2, s18
	ds_read2_b32 v[5:6], v2 offset1:16
	s_add_i32 s18, s18, 4
	s_add_i32 s19, s19, -1
	s_cmp_lg_u32 s19, 0
	s_waitcnt lgkmcnt(0)
	v_add_f32_e32 v1, v1, v5
	v_add_f32_e32 v4, v4, v6
	s_cbranch_scc1 .LBB2_44
	s_branch .LBB2_46
.LBB2_45:                               ;   in Loop: Header=BB2_30 Depth=1
	v_mov_b32_e32 v4, 0
	v_mov_b32_e32 v1, 0
.LBB2_46:                               ;   in Loop: Header=BB2_30 Depth=1
	s_mov_b64 s[22:23], exec
	v_mbcnt_lo_u32_b32 v2, s22, 0
	v_mbcnt_hi_u32_b32 v2, s23, v2
	v_cmp_eq_u32_e32 vcc, 0, v2
	s_and_saveexec_b64 s[18:19], vcc
	s_cbranch_execz .LBB2_49
; %bb.47:                               ;   in Loop: Header=BB2_30 Depth=1
	s_lshl_b64 s[20:21], s[10:11], 2
	s_add_u32 s20, s34, s20
	s_addc_u32 s21, s35, s21
	global_load_dword v2, v3, s[20:21]
	s_bcnt1_i32_b64 s22, s[22:23]
	v_cvt_f32_ubyte0_e32 v5, s22
	v_mul_f32_e32 v5, v1, v5
	s_mov_b64 s[22:23], 0
.LBB2_48:                               ;   Parent Loop BB2_30 Depth=1
                                        ; =>  This Inner Loop Header: Depth=2
	s_waitcnt vmcnt(0)
	v_add_f32_e32 v1, v2, v5
	global_atomic_cmpswap v1, v3, v[1:2], s[20:21] glc
	s_waitcnt vmcnt(0)
	v_cmp_eq_u32_e32 vcc, v1, v2
	s_or_b64 s[22:23], vcc, s[22:23]
	v_mov_b32_e32 v2, v1
	s_andn2_b64 exec, exec, s[22:23]
	s_cbranch_execnz .LBB2_48
.LBB2_49:                               ;   in Loop: Header=BB2_30 Depth=1
	s_or_b64 exec, exec, s[18:19]
	s_mov_b64 s[20:21], exec
	v_mbcnt_lo_u32_b32 v1, s20, 0
	v_mbcnt_hi_u32_b32 v1, s21, v1
	v_cmp_eq_u32_e32 vcc, 0, v1
	s_and_b64 s[18:19], exec, vcc
	s_mov_b64 exec, s[18:19]
	s_cbranch_execz .LBB2_29
; %bb.50:                               ;   in Loop: Header=BB2_30 Depth=1
	s_lshl_b64 s[18:19], s[10:11], 2
	s_add_u32 s18, s36, s18
	s_addc_u32 s19, s37, s19
	global_load_dword v2, v3, s[18:19]
	s_bcnt1_i32_b64 s20, s[20:21]
	v_cvt_f32_ubyte0_e32 v1, s20
	v_mul_f32_e32 v4, v4, v1
	s_mov_b64 s[20:21], 0
.LBB2_51:                               ;   Parent Loop BB2_30 Depth=1
                                        ; =>  This Inner Loop Header: Depth=2
	s_waitcnt vmcnt(0)
	v_add_f32_e32 v1, v2, v4
	global_atomic_cmpswap v1, v3, v[1:2], s[18:19] glc
	s_waitcnt vmcnt(0)
	v_cmp_eq_u32_e32 vcc, v1, v2
	s_or_b64 s[20:21], vcc, s[20:21]
	v_mov_b32_e32 v2, v1
	s_andn2_b64 exec, exec, s[20:21]
	s_cbranch_execnz .LBB2_51
	s_branch .LBB2_29
.LBB2_52:
	s_endpgm
	.section	.rodata,"a",@progbits
	.p2align	6, 0x0
	.amdhsa_kernel _Z25groupnorm_backward_kernelPKfS0_S0_S0_S0_PfS1_S1_iiiii
		.amdhsa_group_segment_fixed_size 128
		.amdhsa_private_segment_fixed_size 0
		.amdhsa_kernarg_size 344
		.amdhsa_user_sgpr_count 6
		.amdhsa_user_sgpr_private_segment_buffer 1
		.amdhsa_user_sgpr_dispatch_ptr 0
		.amdhsa_user_sgpr_queue_ptr 0
		.amdhsa_user_sgpr_kernarg_segment_ptr 1
		.amdhsa_user_sgpr_dispatch_id 0
		.amdhsa_user_sgpr_flat_scratch_init 0
		.amdhsa_user_sgpr_private_segment_size 0
		.amdhsa_uses_dynamic_stack 0
		.amdhsa_system_sgpr_private_segment_wavefront_offset 0
		.amdhsa_system_sgpr_workgroup_id_x 1
		.amdhsa_system_sgpr_workgroup_id_y 0
		.amdhsa_system_sgpr_workgroup_id_z 0
		.amdhsa_system_sgpr_workgroup_info 0
		.amdhsa_system_vgpr_workitem_id 0
		.amdhsa_next_free_vgpr 27
		.amdhsa_next_free_sgpr 40
		.amdhsa_reserve_vcc 1
		.amdhsa_reserve_flat_scratch 0
		.amdhsa_float_round_mode_32 0
		.amdhsa_float_round_mode_16_64 0
		.amdhsa_float_denorm_mode_32 3
		.amdhsa_float_denorm_mode_16_64 3
		.amdhsa_dx10_clamp 1
		.amdhsa_ieee_mode 1
		.amdhsa_fp16_overflow 0
		.amdhsa_exception_fp_ieee_invalid_op 0
		.amdhsa_exception_fp_denorm_src 0
		.amdhsa_exception_fp_ieee_div_zero 0
		.amdhsa_exception_fp_ieee_overflow 0
		.amdhsa_exception_fp_ieee_underflow 0
		.amdhsa_exception_fp_ieee_inexact 0
		.amdhsa_exception_int_div_zero 0
	.end_amdhsa_kernel
	.text
.Lfunc_end2:
	.size	_Z25groupnorm_backward_kernelPKfS0_S0_S0_S0_PfS1_S1_iiiii, .Lfunc_end2-_Z25groupnorm_backward_kernelPKfS0_S0_S0_S0_PfS1_S1_iiiii
                                        ; -- End function
	.set _Z25groupnorm_backward_kernelPKfS0_S0_S0_S0_PfS1_S1_iiiii.num_vgpr, 27
	.set _Z25groupnorm_backward_kernelPKfS0_S0_S0_S0_PfS1_S1_iiiii.num_agpr, 0
	.set _Z25groupnorm_backward_kernelPKfS0_S0_S0_S0_PfS1_S1_iiiii.numbered_sgpr, 40
	.set _Z25groupnorm_backward_kernelPKfS0_S0_S0_S0_PfS1_S1_iiiii.num_named_barrier, 0
	.set _Z25groupnorm_backward_kernelPKfS0_S0_S0_S0_PfS1_S1_iiiii.private_seg_size, 0
	.set _Z25groupnorm_backward_kernelPKfS0_S0_S0_S0_PfS1_S1_iiiii.uses_vcc, 1
	.set _Z25groupnorm_backward_kernelPKfS0_S0_S0_S0_PfS1_S1_iiiii.uses_flat_scratch, 0
	.set _Z25groupnorm_backward_kernelPKfS0_S0_S0_S0_PfS1_S1_iiiii.has_dyn_sized_stack, 0
	.set _Z25groupnorm_backward_kernelPKfS0_S0_S0_S0_PfS1_S1_iiiii.has_recursion, 0
	.set _Z25groupnorm_backward_kernelPKfS0_S0_S0_S0_PfS1_S1_iiiii.has_indirect_call, 0
	.section	.AMDGPU.csdata,"",@progbits
; Kernel info:
; codeLenInByte = 3644
; TotalNumSgprs: 44
; NumVgprs: 27
; ScratchSize: 0
; MemoryBound: 0
; FloatMode: 240
; IeeeMode: 1
; LDSByteSize: 128 bytes/workgroup (compile time only)
; SGPRBlocks: 5
; VGPRBlocks: 6
; NumSGPRsForWavesPerEU: 44
; NumVGPRsForWavesPerEU: 27
; Occupancy: 9
; WaveLimiterHint : 0
; COMPUTE_PGM_RSRC2:SCRATCH_EN: 0
; COMPUTE_PGM_RSRC2:USER_SGPR: 6
; COMPUTE_PGM_RSRC2:TRAP_HANDLER: 0
; COMPUTE_PGM_RSRC2:TGID_X_EN: 1
; COMPUTE_PGM_RSRC2:TGID_Y_EN: 0
; COMPUTE_PGM_RSRC2:TGID_Z_EN: 0
; COMPUTE_PGM_RSRC2:TIDIG_COMP_CNT: 0
	.section	.AMDGPU.gpr_maximums,"",@progbits
	.set amdgpu.max_num_vgpr, 0
	.set amdgpu.max_num_agpr, 0
	.set amdgpu.max_num_sgpr, 0
	.section	.AMDGPU.csdata,"",@progbits
	.type	__hip_cuid_4a55ece3fd656436,@object ; @__hip_cuid_4a55ece3fd656436
	.section	.bss,"aw",@nobits
	.globl	__hip_cuid_4a55ece3fd656436
__hip_cuid_4a55ece3fd656436:
	.byte	0                               ; 0x0
	.size	__hip_cuid_4a55ece3fd656436, 1

	.ident	"AMD clang version 22.0.0git (https://github.com/RadeonOpenCompute/llvm-project roc-7.2.4 26084 f58b06dce1f9c15707c5f808fd002e18c2accf7e)"
	.section	".note.GNU-stack","",@progbits
	.addrsig
	.addrsig_sym __hip_cuid_4a55ece3fd656436
	.amdgpu_metadata
---
amdhsa.kernels:
  - .args:
      - .actual_access:  read_only
        .address_space:  global
        .offset:         0
        .size:           8
        .value_kind:     global_buffer
      - .actual_access:  read_only
        .address_space:  global
        .offset:         8
        .size:           8
        .value_kind:     global_buffer
      - .actual_access:  read_only
        .address_space:  global
        .offset:         16
        .size:           8
        .value_kind:     global_buffer
      - .actual_access:  write_only
        .address_space:  global
        .offset:         24
        .size:           8
        .value_kind:     global_buffer
      - .actual_access:  write_only
        .address_space:  global
        .offset:         32
        .size:           8
        .value_kind:     global_buffer
      - .actual_access:  write_only
        .address_space:  global
        .offset:         40
        .size:           8
        .value_kind:     global_buffer
      - .offset:         48
        .size:           4
        .value_kind:     by_value
      - .offset:         52
        .size:           4
        .value_kind:     by_value
      - .offset:         56
        .size:           4
        .value_kind:     by_value
      - .offset:         60
        .size:           4
        .value_kind:     by_value
      - .offset:         64
        .size:           4
        .value_kind:     by_value
      - .offset:         72
        .size:           4
        .value_kind:     hidden_block_count_x
      - .offset:         76
        .size:           4
        .value_kind:     hidden_block_count_y
      - .offset:         80
        .size:           4
        .value_kind:     hidden_block_count_z
      - .offset:         84
        .size:           2
        .value_kind:     hidden_group_size_x
      - .offset:         86
        .size:           2
        .value_kind:     hidden_group_size_y
      - .offset:         88
        .size:           2
        .value_kind:     hidden_group_size_z
      - .offset:         90
        .size:           2
        .value_kind:     hidden_remainder_x
      - .offset:         92
        .size:           2
        .value_kind:     hidden_remainder_y
      - .offset:         94
        .size:           2
        .value_kind:     hidden_remainder_z
      - .offset:         112
        .size:           8
        .value_kind:     hidden_global_offset_x
      - .offset:         120
        .size:           8
        .value_kind:     hidden_global_offset_y
      - .offset:         128
        .size:           8
        .value_kind:     hidden_global_offset_z
      - .offset:         136
        .size:           2
        .value_kind:     hidden_grid_dims
    .group_segment_fixed_size: 128
    .kernarg_segment_align: 8
    .kernarg_segment_size: 328
    .language:       OpenCL C
    .language_version:
      - 2
      - 0
    .max_flat_workgroup_size: 1024
    .name:           _Z24groupnorm_forward_kernelPKfS0_S0_PfS1_S1_iiiii
    .private_segment_fixed_size: 0
    .sgpr_count:     34
    .sgpr_spill_count: 0
    .symbol:         _Z24groupnorm_forward_kernelPKfS0_S0_PfS1_S1_iiiii.kd
    .uniform_work_group_size: 1
    .uses_dynamic_stack: false
    .vgpr_count:     15
    .vgpr_spill_count: 0
    .wavefront_size: 64
  - .args:
      - .actual_access:  read_only
        .address_space:  global
        .offset:         0
        .size:           8
        .value_kind:     global_buffer
      - .actual_access:  read_only
        .address_space:  global
        .offset:         8
        .size:           8
        .value_kind:     global_buffer
      - .actual_access:  read_only
        .address_space:  global
        .offset:         16
        .size:           8
        .value_kind:     global_buffer
      - .actual_access:  write_only
        .address_space:  global
        .offset:         24
        .size:           8
        .value_kind:     global_buffer
      - .actual_access:  write_only
        .address_space:  global
        .offset:         32
        .size:           8
        .value_kind:     global_buffer
      - .actual_access:  write_only
        .address_space:  global
        .offset:         40
        .size:           8
        .value_kind:     global_buffer
      - .offset:         48
        .size:           4
        .value_kind:     by_value
      - .offset:         52
        .size:           4
        .value_kind:     by_value
      - .offset:         56
        .size:           4
        .value_kind:     by_value
      - .offset:         60
        .size:           4
        .value_kind:     by_value
      - .offset:         64
        .size:           4
        .value_kind:     by_value
      - .offset:         72
        .size:           4
        .value_kind:     hidden_block_count_x
      - .offset:         76
        .size:           4
        .value_kind:     hidden_block_count_y
      - .offset:         80
        .size:           4
        .value_kind:     hidden_block_count_z
      - .offset:         84
        .size:           2
        .value_kind:     hidden_group_size_x
      - .offset:         86
        .size:           2
        .value_kind:     hidden_group_size_y
      - .offset:         88
        .size:           2
        .value_kind:     hidden_group_size_z
      - .offset:         90
        .size:           2
        .value_kind:     hidden_remainder_x
      - .offset:         92
        .size:           2
        .value_kind:     hidden_remainder_y
      - .offset:         94
        .size:           2
        .value_kind:     hidden_remainder_z
      - .offset:         112
        .size:           8
        .value_kind:     hidden_global_offset_x
      - .offset:         120
        .size:           8
        .value_kind:     hidden_global_offset_y
      - .offset:         128
        .size:           8
        .value_kind:     hidden_global_offset_z
      - .offset:         136
        .size:           2
        .value_kind:     hidden_grid_dims
    .group_segment_fixed_size: 128
    .kernarg_segment_align: 8
    .kernarg_segment_size: 328
    .language:       OpenCL C
    .language_version:
      - 2
      - 0
    .max_flat_workgroup_size: 1024
    .name:           _Z25groupnorm_forward_kernel2PKfS0_S0_PfS1_S1_iiiii
    .private_segment_fixed_size: 0
    .sgpr_count:     32
    .sgpr_spill_count: 0
    .symbol:         _Z25groupnorm_forward_kernel2PKfS0_S0_PfS1_S1_iiiii.kd
    .uniform_work_group_size: 1
    .uses_dynamic_stack: false
    .vgpr_count:     16
    .vgpr_spill_count: 0
    .wavefront_size: 64
  - .args:
      - .actual_access:  read_only
        .address_space:  global
        .offset:         0
        .size:           8
        .value_kind:     global_buffer
      - .actual_access:  read_only
        .address_space:  global
        .offset:         8
        .size:           8
        .value_kind:     global_buffer
      - .actual_access:  read_only
        .address_space:  global
        .offset:         16
        .size:           8
        .value_kind:     global_buffer
      - .actual_access:  read_only
        .address_space:  global
        .offset:         24
        .size:           8
        .value_kind:     global_buffer
      - .actual_access:  read_only
        .address_space:  global
        .offset:         32
        .size:           8
        .value_kind:     global_buffer
      - .actual_access:  write_only
        .address_space:  global
        .offset:         40
        .size:           8
        .value_kind:     global_buffer
      - .address_space:  global
        .offset:         48
        .size:           8
        .value_kind:     global_buffer
      - .address_space:  global
        .offset:         56
        .size:           8
        .value_kind:     global_buffer
      - .offset:         64
        .size:           4
        .value_kind:     by_value
      - .offset:         68
        .size:           4
        .value_kind:     by_value
      - .offset:         72
        .size:           4
        .value_kind:     by_value
      - .offset:         76
        .size:           4
        .value_kind:     by_value
      - .offset:         80
        .size:           4
        .value_kind:     by_value
      - .offset:         88
        .size:           4
        .value_kind:     hidden_block_count_x
      - .offset:         92
        .size:           4
        .value_kind:     hidden_block_count_y
      - .offset:         96
        .size:           4
        .value_kind:     hidden_block_count_z
      - .offset:         100
        .size:           2
        .value_kind:     hidden_group_size_x
      - .offset:         102
        .size:           2
        .value_kind:     hidden_group_size_y
      - .offset:         104
        .size:           2
        .value_kind:     hidden_group_size_z
      - .offset:         106
        .size:           2
        .value_kind:     hidden_remainder_x
      - .offset:         108
        .size:           2
        .value_kind:     hidden_remainder_y
      - .offset:         110
        .size:           2
        .value_kind:     hidden_remainder_z
      - .offset:         128
        .size:           8
        .value_kind:     hidden_global_offset_x
      - .offset:         136
        .size:           8
        .value_kind:     hidden_global_offset_y
      - .offset:         144
        .size:           8
        .value_kind:     hidden_global_offset_z
      - .offset:         152
        .size:           2
        .value_kind:     hidden_grid_dims
    .group_segment_fixed_size: 128
    .kernarg_segment_align: 8
    .kernarg_segment_size: 344
    .language:       OpenCL C
    .language_version:
      - 2
      - 0
    .max_flat_workgroup_size: 1024
    .name:           _Z25groupnorm_backward_kernelPKfS0_S0_S0_S0_PfS1_S1_iiiii
    .private_segment_fixed_size: 0
    .sgpr_count:     44
    .sgpr_spill_count: 0
    .symbol:         _Z25groupnorm_backward_kernelPKfS0_S0_S0_S0_PfS1_S1_iiiii.kd
    .uniform_work_group_size: 1
    .uses_dynamic_stack: false
    .vgpr_count:     27
    .vgpr_spill_count: 0
    .wavefront_size: 64
amdhsa.target:   amdgcn-amd-amdhsa--gfx906
amdhsa.version:
  - 1
  - 2
...

	.end_amdgpu_metadata
